;; amdgpu-corpus repo=ROCm/rocFFT kind=compiled arch=gfx950 opt=O3
	.text
	.amdgcn_target "amdgcn-amd-amdhsa--gfx950"
	.amdhsa_code_object_version 6
	.protected	bluestein_single_fwd_len120_dim1_dp_op_CI_CI ; -- Begin function bluestein_single_fwd_len120_dim1_dp_op_CI_CI
	.globl	bluestein_single_fwd_len120_dim1_dp_op_CI_CI
	.p2align	8
	.type	bluestein_single_fwd_len120_dim1_dp_op_CI_CI,@function
bluestein_single_fwd_len120_dim1_dp_op_CI_CI: ; @bluestein_single_fwd_len120_dim1_dp_op_CI_CI
; %bb.0:
	s_load_dwordx4 s[12:15], s[0:1], 0x28
	v_mul_u32_u24_e32 v1, 0x1556, v0
	v_lshrrev_b32_e32 v2, 16, v1
	v_mad_u64_u32 v[132:133], s[2:3], s2, 5, v[2:3]
	v_mov_b32_e32 v129, 0
	v_mov_b32_e32 v133, v129
	s_waitcnt lgkmcnt(0)
	v_cmp_gt_u64_e32 vcc, s[12:13], v[132:133]
	s_and_saveexec_b64 s[2:3], vcc
	s_cbranch_execz .LBB0_15
; %bb.1:
	s_load_dwordx4 s[4:7], s[0:1], 0x18
	s_load_dwordx2 s[12:13], s[0:1], 0x0
	v_mul_lo_u16_e32 v1, 12, v2
	v_sub_u16_e32 v128, v0, v1
	v_mov_b32_e32 v4, s14
	s_waitcnt lgkmcnt(0)
	s_load_dwordx4 s[8:11], s[4:5], 0x0
	v_mov_b32_e32 v5, s15
	v_or_b32_e32 v135, 0x50, v128
	v_mov_b32_e32 v8, 0x140
	v_lshlrev_b32_e32 v52, 4, v128
	s_waitcnt lgkmcnt(0)
	v_mad_u64_u32 v[0:1], s[2:3], s10, v132, 0
	v_mov_b32_e32 v2, v1
	v_mad_u64_u32 v[2:3], s[2:3], s11, v132, v[2:3]
	v_mov_b32_e32 v1, v2
	;; [unrolled: 2-line block ×4, first 2 shown]
	v_lshl_add_u64 v[24:25], v[0:1], 4, v[4:5]
	v_mad_u64_u32 v[0:1], s[2:3], s8, v135, 0
	v_lshl_add_u64 v[4:5], v[2:3], 4, v[24:25]
	v_mov_b32_e32 v2, v1
	v_mad_u64_u32 v[2:3], s[2:3], s9, v135, v[2:3]
	v_mov_b32_e32 v1, v2
	v_lshl_add_u64 v[6:7], v[0:1], 4, v[24:25]
	global_load_dwordx4 v[28:31], v[4:5], off
	global_load_dwordx4 v[32:35], v[6:7], off
	global_load_dwordx4 v[20:23], v52, s[12:13]
	global_load_dwordx4 v[0:3], v52, s[12:13] offset:1280
	v_mad_u64_u32 v[4:5], s[2:3], s8, v8, v[4:5]
	s_mul_i32 s4, s9, 0x140
	v_add_u32_e32 v5, s4, v5
	global_load_dwordx4 v[36:39], v[4:5], off
	global_load_dwordx4 v[16:19], v52, s[12:13] offset:320
	v_mad_u64_u32 v[4:5], s[2:3], s8, v8, v[4:5]
	v_add_u32_e32 v5, s4, v5
	v_mad_u64_u32 v[6:7], s[2:3], s8, v8, v[4:5]
	global_load_dwordx4 v[12:15], v52, s[12:13] offset:640
	s_mul_i32 s2, s9, 40
	s_mul_hi_u32 s3, s8, 40
	v_add_u32_e32 v7, s4, v7
	s_add_i32 s15, s3, s2
	s_mul_i32 s14, s8, 40
	global_load_dwordx4 v[40:43], v[4:5], off
	global_load_dwordx4 v[44:47], v[6:7], off
	global_load_dwordx4 v[8:11], v52, s[12:13] offset:960
	v_lshl_add_u64 v[26:27], s[14:15], 4, v[6:7]
	global_load_dwordx4 v[4:7], v52, s[12:13] offset:1600
	global_load_dwordx4 v[48:51], v[26:27], off
	s_mov_b32 s4, 0xcccccccd
	v_mul_hi_u32 v54, v132, s4
	v_lshrrev_b32_e32 v54, 2, v54
	v_lshl_add_u32 v54, v54, 2, v54
	v_sub_u32_e32 v54, v132, v54
	v_mul_u32_u24_e32 v54, 0x78, v54
	v_mov_b32_e32 v53, v129
	v_lshlrev_b32_e32 v136, 4, v54
	v_lshl_add_u64 v[130:131], s[12:13], 0, v[52:53]
	v_add_u32_e32 v133, v52, v136
	s_load_dwordx2 s[2:3], s[0:1], 0x38
	v_cmp_gt_u16_e32 vcc, 8, v128
	s_load_dwordx4 s[4:7], s[6:7], 0x0
	v_or_b32_e32 v134, 32, v128
	s_waitcnt vmcnt(9)
	v_mul_f64 v[52:53], v[30:31], v[22:23]
	v_mul_f64 v[54:55], v[28:29], v[22:23]
	v_fmac_f64_e32 v[52:53], v[28:29], v[20:21]
	v_fma_f64 v[54:55], v[30:31], v[20:21], -v[54:55]
	s_waitcnt vmcnt(8)
	v_mul_f64 v[56:57], v[34:35], v[2:3]
	v_mul_f64 v[58:59], v[32:33], v[2:3]
	s_waitcnt vmcnt(6)
	v_mul_f64 v[28:29], v[38:39], v[18:19]
	v_mul_f64 v[30:31], v[36:37], v[18:19]
	v_fmac_f64_e32 v[28:29], v[36:37], v[16:17]
	v_fma_f64 v[30:31], v[38:39], v[16:17], -v[30:31]
	ds_write_b128 v133, v[28:31] offset:320
	v_fmac_f64_e32 v[56:57], v[32:33], v[0:1]
	v_fma_f64 v[58:59], v[34:35], v[0:1], -v[58:59]
	ds_write_b128 v133, v[52:55]
	ds_write_b128 v133, v[56:59] offset:1280
	s_waitcnt vmcnt(4)
	v_mul_f64 v[28:29], v[42:43], v[14:15]
	v_mul_f64 v[30:31], v[40:41], v[14:15]
	v_fmac_f64_e32 v[28:29], v[40:41], v[12:13]
	v_fma_f64 v[30:31], v[42:43], v[12:13], -v[30:31]
	ds_write_b128 v133, v[28:31] offset:640
	s_waitcnt vmcnt(2)
	v_mul_f64 v[28:29], v[46:47], v[10:11]
	v_mul_f64 v[30:31], v[44:45], v[10:11]
	s_waitcnt vmcnt(0)
	v_mul_f64 v[32:33], v[50:51], v[6:7]
	v_mul_f64 v[34:35], v[48:49], v[6:7]
	v_fmac_f64_e32 v[28:29], v[44:45], v[8:9]
	v_fma_f64 v[30:31], v[46:47], v[8:9], -v[30:31]
	v_fmac_f64_e32 v[32:33], v[48:49], v[4:5]
	v_fma_f64 v[34:35], v[50:51], v[4:5], -v[34:35]
	ds_write_b128 v133, v[28:31] offset:960
	ds_write_b128 v133, v[32:35] offset:1600
	s_and_saveexec_b64 s[10:11], vcc
	s_cbranch_execz .LBB0_3
; %bb.2:
	v_mov_b32_e32 v28, 0xfffffa80
	v_mad_u64_u32 v[42:43], s[16:17], s8, v28, v[26:27]
	s_mul_i32 s16, s9, 0xfffffa80
	s_sub_i32 s16, s16, s8
	v_add_u32_e32 v43, s16, v43
	v_mad_u64_u32 v[30:31], s[16:17], s8, v134, 0
	v_mov_b32_e32 v32, v31
	v_mad_u64_u32 v[32:33], s[16:17], s9, v134, v[32:33]
	v_or_b32_e32 v47, 0x48, v128
	v_mov_b32_e32 v31, v32
	s_lshl_b64 s[14:15], s[14:15], 4
	v_mad_u64_u32 v[50:51], s[16:17], s8, v47, 0
	v_lshl_add_u64 v[44:45], v[30:31], 4, v[24:25]
	v_lshl_add_u64 v[58:59], v[42:43], 0, s[14:15]
	v_mov_b32_e32 v46, v51
	v_or_b32_e32 v69, 0x70, v128
	global_load_dwordx4 v[26:29], v[42:43], off
	global_load_dwordx4 v[30:33], v[44:45], off
	global_load_dwordx4 v[34:37], v[130:131], off offset:192
	global_load_dwordx4 v[38:41], v[130:131], off offset:512
	v_mad_u64_u32 v[46:47], s[16:17], s9, v47, v[46:47]
	global_load_dwordx4 v[42:45], v[58:59], off
	v_lshl_add_u64 v[58:59], v[58:59], 0, s[14:15]
	v_mad_u64_u32 v[66:67], s[14:15], s8, v69, 0
	v_mov_b32_e32 v51, v46
	global_load_dwordx4 v[46:49], v[130:131], off offset:832
	v_mov_b32_e32 v68, v67
	v_lshl_add_u64 v[60:61], v[50:51], 4, v[24:25]
	v_mad_u64_u32 v[68:69], s[8:9], s9, v69, v[68:69]
	global_load_dwordx4 v[50:53], v[60:61], off
	global_load_dwordx4 v[54:57], v[130:131], off offset:1152
	global_load_dwordx4 v[62:65], v[130:131], off offset:1472
	v_mov_b32_e32 v67, v68
	global_load_dwordx4 v[58:61], v[58:59], off
	v_lshl_add_u64 v[24:25], v[66:67], 4, v[24:25]
	global_load_dwordx4 v[66:69], v[130:131], off offset:1792
	global_load_dwordx4 v[70:73], v[24:25], off
	s_waitcnt vmcnt(9)
	v_mul_f64 v[24:25], v[28:29], v[36:37]
	v_mul_f64 v[36:37], v[26:27], v[36:37]
	v_fmac_f64_e32 v[24:25], v[26:27], v[34:35]
	v_fma_f64 v[26:27], v[28:29], v[34:35], -v[36:37]
	ds_write_b128 v133, v[24:27] offset:192
	s_waitcnt vmcnt(8)
	v_mul_f64 v[26:27], v[30:31], v[40:41]
	v_mul_f64 v[24:25], v[32:33], v[40:41]
	v_fma_f64 v[26:27], v[32:33], v[38:39], -v[26:27]
	v_fmac_f64_e32 v[24:25], v[30:31], v[38:39]
	s_waitcnt vmcnt(6)
	v_mul_f64 v[34:35], v[44:45], v[48:49]
	v_mul_f64 v[28:29], v[42:43], v[48:49]
	v_fmac_f64_e32 v[34:35], v[42:43], v[46:47]
	v_fma_f64 v[36:37], v[44:45], v[46:47], -v[28:29]
	ds_write_b128 v133, v[34:37] offset:832
	s_waitcnt vmcnt(4)
	v_mul_f64 v[32:33], v[52:53], v[56:57]
	v_mul_f64 v[34:35], v[50:51], v[56:57]
	v_fmac_f64_e32 v[32:33], v[50:51], v[54:55]
	s_waitcnt vmcnt(2)
	v_mul_f64 v[28:29], v[60:61], v[64:65]
	v_mul_f64 v[40:41], v[58:59], v[64:65]
	v_fmac_f64_e32 v[28:29], v[58:59], v[62:63]
	v_fma_f64 v[30:31], v[60:61], v[62:63], -v[40:41]
	s_waitcnt vmcnt(0)
	v_mul_f64 v[36:37], v[72:73], v[68:69]
	v_mul_f64 v[38:39], v[70:71], v[68:69]
	v_fma_f64 v[34:35], v[52:53], v[54:55], -v[34:35]
	ds_write_b128 v133, v[24:27] offset:512
	ds_write_b128 v133, v[28:31] offset:1472
	v_fmac_f64_e32 v[36:37], v[70:71], v[66:67]
	v_fma_f64 v[38:39], v[72:73], v[66:67], -v[38:39]
	ds_write_b128 v133, v[32:35] offset:1152
	ds_write_b128 v133, v[36:39] offset:1792
.LBB0_3:
	s_or_b64 exec, exec, s[10:11]
	s_waitcnt lgkmcnt(0)
	; wave barrier
	s_waitcnt lgkmcnt(0)
	ds_read_b128 v[24:27], v133
	ds_read_b128 v[28:31], v133 offset:320
	ds_read_b128 v[64:67], v133 offset:640
	;; [unrolled: 1-line block ×5, first 2 shown]
	s_load_dwordx2 s[8:9], s[0:1], 0x8
                                        ; implicit-def: $vgpr32_vgpr33
                                        ; implicit-def: $vgpr36_vgpr37
                                        ; implicit-def: $vgpr40_vgpr41
                                        ; implicit-def: $vgpr44_vgpr45
                                        ; implicit-def: $vgpr48_vgpr49
                                        ; implicit-def: $vgpr52_vgpr53
	s_and_saveexec_b64 s[0:1], vcc
	s_cbranch_execz .LBB0_5
; %bb.4:
	ds_read_b128 v[32:35], v133 offset:192
	ds_read_b128 v[36:39], v133 offset:512
	;; [unrolled: 1-line block ×6, first 2 shown]
.LBB0_5:
	s_or_b64 exec, exec, s[0:1]
	s_waitcnt lgkmcnt(0)
	v_add_f64 v[72:73], v[24:25], v[64:65]
	v_add_f64 v[84:85], v[72:73], v[68:69]
	v_add_f64 v[72:73], v[64:65], v[68:69]
	s_mov_b32 s0, 0xe8584caa
	v_fmac_f64_e32 v[24:25], -0.5, v[72:73]
	v_add_f64 v[72:73], v[66:67], -v[70:71]
	s_mov_b32 s1, 0x3febb67a
	s_mov_b32 s11, 0xbfebb67a
	;; [unrolled: 1-line block ×3, first 2 shown]
	v_fma_f64 v[86:87], s[0:1], v[72:73], v[24:25]
	v_fmac_f64_e32 v[24:25], s[10:11], v[72:73]
	v_add_f64 v[72:73], v[26:27], v[66:67]
	v_add_f64 v[66:67], v[66:67], v[70:71]
	v_fmac_f64_e32 v[26:27], -0.5, v[66:67]
	v_add_f64 v[64:65], v[64:65], -v[68:69]
	v_add_f64 v[68:69], v[56:57], v[60:61]
	v_fma_f64 v[66:67], s[10:11], v[64:65], v[26:27]
	v_fmac_f64_e32 v[26:27], s[0:1], v[64:65]
	v_add_f64 v[64:65], v[28:29], v[56:57]
	v_fmac_f64_e32 v[28:29], -0.5, v[68:69]
	v_add_f64 v[68:69], v[58:59], -v[62:63]
	v_add_f64 v[90:91], v[72:73], v[70:71]
	v_fma_f64 v[70:71], s[0:1], v[68:69], v[28:29]
	v_fmac_f64_e32 v[28:29], s[10:11], v[68:69]
	v_add_f64 v[68:69], v[30:31], v[58:59]
	v_add_f64 v[58:59], v[58:59], v[62:63]
	v_fmac_f64_e32 v[30:31], -0.5, v[58:59]
	v_add_f64 v[56:57], v[56:57], -v[60:61]
	v_add_f64 v[64:65], v[64:65], v[60:61]
	v_fma_f64 v[58:59], s[10:11], v[56:57], v[30:31]
	v_fmac_f64_e32 v[30:31], s[0:1], v[56:57]
	v_mul_f64 v[60:61], v[28:29], -0.5
	v_fmac_f64_e32 v[60:61], s[0:1], v[30:31]
	v_add_f64 v[68:69], v[68:69], v[62:63]
	v_mul_f64 v[56:57], v[58:59], s[0:1]
	v_add_f64 v[80:81], v[24:25], v[60:61]
	v_mul_f64 v[62:63], v[70:71], s[10:11]
	v_add_f64 v[92:93], v[24:25], -v[60:61]
	v_add_f64 v[24:25], v[40:41], v[48:49]
	v_fmac_f64_e32 v[56:57], 0.5, v[70:71]
	v_fmac_f64_e32 v[62:63], 0.5, v[58:59]
	v_fma_f64 v[58:59], -0.5, v[24:25], v[32:33]
	v_add_f64 v[24:25], v[42:43], -v[50:51]
	v_add_f64 v[76:77], v[86:87], v[56:57]
	v_add_f64 v[88:89], v[86:87], -v[56:57]
	v_fma_f64 v[56:57], s[0:1], v[24:25], v[58:59]
	v_fmac_f64_e32 v[58:59], s[10:11], v[24:25]
	v_add_f64 v[24:25], v[42:43], v[50:51]
	v_add_f64 v[74:75], v[90:91], v[68:69]
	v_add_f64 v[78:79], v[66:67], v[62:63]
	v_mul_f64 v[30:31], v[30:31], -0.5
	v_add_f64 v[86:87], v[90:91], -v[68:69]
	v_add_f64 v[90:91], v[66:67], -v[62:63]
	v_fma_f64 v[62:63], -0.5, v[24:25], v[34:35]
	v_add_f64 v[24:25], v[40:41], -v[48:49]
	v_fmac_f64_e32 v[30:31], s[10:11], v[28:29]
	v_fma_f64 v[60:61], s[10:11], v[24:25], v[62:63]
	v_fmac_f64_e32 v[62:63], s[0:1], v[24:25]
	v_add_f64 v[24:25], v[44:45], v[52:53]
	v_add_f64 v[82:83], v[26:27], v[30:31]
	v_add_f64 v[94:95], v[26:27], -v[30:31]
	v_fma_f64 v[24:25], -0.5, v[24:25], v[36:37]
	v_add_f64 v[26:27], v[46:47], -v[54:55]
	v_fma_f64 v[28:29], s[0:1], v[26:27], v[24:25]
	v_fmac_f64_e32 v[24:25], s[10:11], v[26:27]
	v_add_f64 v[26:27], v[46:47], v[54:55]
	v_fma_f64 v[26:27], -0.5, v[26:27], v[38:39]
	v_add_f64 v[30:31], v[44:45], -v[52:53]
	v_fma_f64 v[70:71], s[10:11], v[30:31], v[26:27]
	v_fmac_f64_e32 v[26:27], s[0:1], v[30:31]
	v_mul_f64 v[68:69], v[28:29], s[10:11]
	v_lshl_add_u64 v[96:97], v[128:129], 0, 12
	v_add_f64 v[72:73], v[84:85], v[64:65]
	v_add_f64 v[84:85], v[84:85], -v[64:65]
	v_mul_f64 v[64:65], v[70:71], s[0:1]
	v_mul_f64 v[66:67], v[24:25], -0.5
	v_fmac_f64_e32 v[68:69], 0.5, v[70:71]
	v_mul_f64 v[70:71], v[26:27], -0.5
	v_fmac_f64_e32 v[64:65], 0.5, v[28:29]
	v_fmac_f64_e32 v[66:67], s[0:1], v[26:27]
	v_fmac_f64_e32 v[70:71], s[10:11], v[24:25]
	v_mul_lo_u16_e32 v97, 6, v128
	v_add_f64 v[24:25], v[56:57], -v[64:65]
	v_add_f64 v[28:29], v[58:59], -v[66:67]
	;; [unrolled: 1-line block ×4, first 2 shown]
	v_lshl_add_u32 v138, v97, 4, v136
	v_mul_u32_u24_e32 v137, 6, v96
	s_waitcnt lgkmcnt(0)
	; wave barrier
	ds_write_b128 v138, v[72:75]
	ds_write_b128 v138, v[76:79] offset:16
	ds_write_b128 v138, v[80:83] offset:32
	;; [unrolled: 1-line block ×5, first 2 shown]
	s_and_saveexec_b64 s[0:1], vcc
	s_cbranch_execz .LBB0_7
; %bb.6:
	v_add_f64 v[34:35], v[34:35], v[42:43]
	v_add_f64 v[32:33], v[32:33], v[40:41]
	;; [unrolled: 1-line block ×8, first 2 shown]
	v_add_f64 v[34:35], v[50:51], -v[46:47]
	v_add_f64 v[32:33], v[48:49], -v[44:45]
	v_add_f64 v[46:47], v[50:51], v[46:47]
	v_add_f64 v[44:45], v[48:49], v[44:45]
	v_lshl_add_u32 v48, v137, 4, v136
	v_add_f64 v[38:39], v[62:63], v[70:71]
	v_add_f64 v[42:43], v[60:61], v[68:69]
	;; [unrolled: 1-line block ×4, first 2 shown]
	ds_write_b128 v48, v[44:47]
	ds_write_b128 v48, v[40:43] offset:16
	ds_write_b128 v48, v[36:39] offset:32
	;; [unrolled: 1-line block ×5, first 2 shown]
.LBB0_7:
	s_or_b64 exec, exec, s[0:1]
	v_add_u32_e32 v32, -6, v128
	v_cmp_gt_u16_e64 s[0:1], 6, v128
	s_waitcnt lgkmcnt(0)
	; wave barrier
	s_waitcnt lgkmcnt(0)
	v_cndmask_b32_e64 v139, v32, v128, s[0:1]
	v_mul_hi_i32_i24_e32 v33, 0x90, v139
	v_mul_i32_i24_e32 v32, 0x90, v139
	v_lshl_add_u64 v[68:69], s[8:9], 0, v[32:33]
	global_load_dwordx4 v[44:47], v[68:69], off
	global_load_dwordx4 v[40:43], v[68:69], off offset:16
	global_load_dwordx4 v[36:39], v[68:69], off offset:32
	;; [unrolled: 1-line block ×8, first 2 shown]
	ds_read_b128 v[68:71], v133
	ds_read_b128 v[72:75], v133 offset:192
	ds_read_b128 v[76:79], v133 offset:384
	;; [unrolled: 1-line block ×9, first 2 shown]
	s_mov_b32 s16, 0x134454ff
	s_mov_b32 s17, 0x3fee6f0e
	s_mov_b32 s18, 0x4755a5e
	s_mov_b32 s11, 0xbfee6f0e
	s_mov_b32 s10, s16
	s_mov_b32 s19, 0x3fe2cf23
	s_mov_b32 s0, 0x372fe950
	s_mov_b32 s15, 0xbfe2cf23
	s_mov_b32 s14, s18
	s_mov_b32 s1, 0x3fd3c6ef
	s_mov_b32 s20, 0x9b97f4a8
	s_mov_b32 s21, 0x3fe9e377
	s_waitcnt lgkmcnt(0)
	; wave barrier
	s_waitcnt vmcnt(8) lgkmcnt(0)
	v_mul_f64 v[108:109], v[74:75], v[46:47]
	v_mul_f64 v[110:111], v[72:73], v[46:47]
	s_waitcnt vmcnt(7)
	v_mul_f64 v[112:113], v[78:79], v[42:43]
	s_waitcnt vmcnt(6)
	v_mul_f64 v[116:117], v[82:83], v[38:39]
	s_waitcnt vmcnt(5)
	v_mul_f64 v[120:121], v[86:87], v[34:35]
	s_waitcnt vmcnt(3)
	v_mul_f64 v[140:141], v[94:95], v[58:59]
	v_mul_f64 v[114:115], v[76:77], v[42:43]
	;; [unrolled: 1-line block ×4, first 2 shown]
	s_waitcnt vmcnt(1)
	v_mul_f64 v[148:149], v[102:103], v[50:51]
	v_mul_f64 v[150:151], v[100:101], v[50:51]
	v_fma_f64 v[108:109], v[72:73], v[44:45], -v[108:109]
	v_fmac_f64_e32 v[110:111], v[74:75], v[44:45]
	v_fma_f64 v[72:73], v[76:77], v[40:41], -v[112:113]
	v_fma_f64 v[74:75], v[80:81], v[36:37], -v[116:117]
	;; [unrolled: 1-line block ×4, first 2 shown]
	v_mul_f64 v[122:123], v[84:85], v[34:35]
	v_mul_f64 v[124:125], v[90:91], v[62:63]
	;; [unrolled: 1-line block ×5, first 2 shown]
	v_fmac_f64_e32 v[114:115], v[78:79], v[40:41]
	v_fmac_f64_e32 v[126:127], v[90:91], v[60:61]
	v_fma_f64 v[84:85], v[100:101], v[48:49], -v[148:149]
	v_fmac_f64_e32 v[150:151], v[102:103], v[48:49]
	v_add_f64 v[90:91], v[76:77], v[80:81]
	v_fmac_f64_e32 v[118:119], v[82:83], v[36:37]
	v_fmac_f64_e32 v[122:123], v[86:87], v[32:33]
	v_fma_f64 v[78:79], v[88:89], v[60:61], -v[124:125]
	v_fmac_f64_e32 v[142:143], v[94:95], v[56:57]
	v_fma_f64 v[82:83], v[96:97], v[52:53], -v[144:145]
	v_fmac_f64_e32 v[146:147], v[98:99], v[52:53]
	v_add_f64 v[88:89], v[68:69], v[72:73]
	v_add_f64 v[92:93], v[114:115], -v[150:151]
	v_add_f64 v[96:97], v[72:73], -v[76:77]
	v_add_f64 v[98:99], v[84:85], -v[80:81]
	v_fma_f64 v[102:103], -0.5, v[90:91], v[68:69]
	v_add_f64 v[94:95], v[122:123], -v[142:143]
	v_add_f64 v[100:101], v[72:73], v[84:85]
	v_add_f64 v[88:89], v[88:89], v[76:77]
	;; [unrolled: 1-line block ×3, first 2 shown]
	v_fma_f64 v[96:97], s[16:17], v[92:93], v[102:103]
	v_fmac_f64_e32 v[102:103], s[10:11], v[92:93]
	v_add_f64 v[88:89], v[88:89], v[80:81]
	v_fmac_f64_e32 v[96:97], s[18:19], v[94:95]
	v_fmac_f64_e32 v[102:103], s[14:15], v[94:95]
	v_fmac_f64_e32 v[68:69], -0.5, v[100:101]
	v_add_f64 v[98:99], v[88:89], v[84:85]
	v_fmac_f64_e32 v[96:97], s[0:1], v[90:91]
	v_fmac_f64_e32 v[102:103], s[0:1], v[90:91]
	v_fma_f64 v[100:101], s[10:11], v[94:95], v[68:69]
	v_add_f64 v[88:89], v[76:77], -v[72:73]
	v_add_f64 v[90:91], v[80:81], -v[84:85]
	v_fmac_f64_e32 v[68:69], s[16:17], v[94:95]
	v_fmac_f64_e32 v[100:101], s[18:19], v[92:93]
	v_add_f64 v[88:89], v[88:89], v[90:91]
	v_fmac_f64_e32 v[68:69], s[14:15], v[92:93]
	v_fmac_f64_e32 v[100:101], s[0:1], v[88:89]
	;; [unrolled: 1-line block ×3, first 2 shown]
	v_add_f64 v[88:89], v[70:71], v[114:115]
	v_add_f64 v[88:89], v[88:89], v[122:123]
	;; [unrolled: 1-line block ×3, first 2 shown]
	s_waitcnt vmcnt(0)
	v_mul_f64 v[154:155], v[104:105], v[66:67]
	v_add_f64 v[94:95], v[88:89], v[150:151]
	v_add_f64 v[88:89], v[122:123], v[142:143]
	v_mul_f64 v[152:153], v[106:107], v[66:67]
	v_fmac_f64_e32 v[154:155], v[106:107], v[64:65]
	v_fma_f64 v[106:107], -0.5, v[88:89], v[70:71]
	v_add_f64 v[72:73], v[72:73], -v[84:85]
	v_fma_f64 v[112:113], s[10:11], v[72:73], v[106:107]
	v_add_f64 v[76:77], v[76:77], -v[80:81]
	v_add_f64 v[80:81], v[114:115], -v[122:123]
	;; [unrolled: 1-line block ×3, first 2 shown]
	v_fmac_f64_e32 v[106:107], s[16:17], v[72:73]
	v_fmac_f64_e32 v[112:113], s[14:15], v[76:77]
	v_add_f64 v[80:81], v[80:81], v[84:85]
	v_fmac_f64_e32 v[106:107], s[18:19], v[76:77]
	v_fmac_f64_e32 v[112:113], s[0:1], v[80:81]
	;; [unrolled: 1-line block ×3, first 2 shown]
	v_add_f64 v[80:81], v[114:115], v[150:151]
	v_fmac_f64_e32 v[70:71], -0.5, v[80:81]
	v_fma_f64 v[116:117], s[16:17], v[76:77], v[70:71]
	v_fmac_f64_e32 v[70:71], s[10:11], v[76:77]
	v_fmac_f64_e32 v[116:117], s[14:15], v[72:73]
	;; [unrolled: 1-line block ×3, first 2 shown]
	v_add_f64 v[72:73], v[108:109], v[74:75]
	v_add_f64 v[72:73], v[72:73], v[78:79]
	v_fma_f64 v[86:87], v[104:105], v[64:65], -v[152:153]
	v_add_f64 v[72:73], v[72:73], v[82:83]
	v_add_f64 v[80:81], v[122:123], -v[114:115]
	v_add_f64 v[84:85], v[142:143], -v[150:151]
	v_add_f64 v[92:93], v[72:73], v[86:87]
	v_add_f64 v[72:73], v[78:79], v[82:83]
	;; [unrolled: 1-line block ×3, first 2 shown]
	v_fma_f64 v[90:91], -0.5, v[72:73], v[108:109]
	v_add_f64 v[72:73], v[118:119], -v[154:155]
	v_fmac_f64_e32 v[116:117], s[0:1], v[80:81]
	v_fmac_f64_e32 v[70:71], s[0:1], v[80:81]
	v_fma_f64 v[104:105], s[16:17], v[72:73], v[90:91]
	v_add_f64 v[76:77], v[126:127], -v[146:147]
	v_add_f64 v[80:81], v[74:75], -v[78:79]
	;; [unrolled: 1-line block ×3, first 2 shown]
	v_fmac_f64_e32 v[90:91], s[10:11], v[72:73]
	v_fmac_f64_e32 v[104:105], s[18:19], v[76:77]
	v_add_f64 v[80:81], v[80:81], v[84:85]
	v_fmac_f64_e32 v[90:91], s[14:15], v[76:77]
	v_fmac_f64_e32 v[104:105], s[0:1], v[80:81]
	;; [unrolled: 1-line block ×3, first 2 shown]
	v_add_f64 v[80:81], v[74:75], v[86:87]
	v_fmac_f64_e32 v[108:109], -0.5, v[80:81]
	v_fma_f64 v[114:115], s[10:11], v[76:77], v[108:109]
	v_fmac_f64_e32 v[108:109], s[16:17], v[76:77]
	v_fmac_f64_e32 v[114:115], s[18:19], v[72:73]
	;; [unrolled: 1-line block ×3, first 2 shown]
	v_add_f64 v[72:73], v[110:111], v[118:119]
	v_add_f64 v[72:73], v[72:73], v[126:127]
	;; [unrolled: 1-line block ×5, first 2 shown]
	v_fma_f64 v[122:123], -0.5, v[72:73], v[110:111]
	v_add_f64 v[72:73], v[74:75], -v[86:87]
	v_add_f64 v[80:81], v[78:79], -v[74:75]
	;; [unrolled: 1-line block ×3, first 2 shown]
	v_fma_f64 v[86:87], s[10:11], v[72:73], v[122:123]
	v_add_f64 v[74:75], v[78:79], -v[82:83]
	v_add_f64 v[76:77], v[118:119], -v[126:127]
	v_add_f64 v[78:79], v[154:155], -v[146:147]
	v_fmac_f64_e32 v[122:123], s[16:17], v[72:73]
	v_fmac_f64_e32 v[86:87], s[14:15], v[74:75]
	v_add_f64 v[76:77], v[76:77], v[78:79]
	v_fmac_f64_e32 v[122:123], s[18:19], v[74:75]
	v_fmac_f64_e32 v[86:87], s[0:1], v[76:77]
	;; [unrolled: 1-line block ×3, first 2 shown]
	v_add_f64 v[76:77], v[118:119], v[154:155]
	v_fmac_f64_e32 v[110:111], -0.5, v[76:77]
	v_fma_f64 v[82:83], s[16:17], v[74:75], v[110:111]
	v_add_f64 v[76:77], v[126:127], -v[118:119]
	v_add_f64 v[78:79], v[146:147], -v[154:155]
	v_fmac_f64_e32 v[82:83], s[14:15], v[72:73]
	v_add_f64 v[76:77], v[76:77], v[78:79]
	v_fmac_f64_e32 v[110:111], s[10:11], v[74:75]
	v_add_f64 v[80:81], v[80:81], v[84:85]
	v_fmac_f64_e32 v[82:83], s[0:1], v[76:77]
	v_fmac_f64_e32 v[110:111], s[18:19], v[72:73]
	;; [unrolled: 1-line block ×4, first 2 shown]
	v_mul_f64 v[124:125], v[82:83], s[16:17]
	v_mul_f64 v[142:143], v[104:105], s[14:15]
	v_fmac_f64_e32 v[108:109], s[0:1], v[80:81]
	v_mul_f64 v[118:119], v[86:87], s[18:19]
	v_fmac_f64_e32 v[124:125], s[0:1], v[114:115]
	v_fmac_f64_e32 v[142:143], s[20:21], v[86:87]
	v_mul_f64 v[114:115], v[114:115], s[10:11]
	v_mul_f64 v[86:87], v[110:111], s[0:1]
	;; [unrolled: 1-line block ×3, first 2 shown]
	v_fmac_f64_e32 v[114:115], s[0:1], v[82:83]
	v_fma_f64 v[108:109], v[108:109], s[10:11], -v[86:87]
	v_cmp_lt_u16_e64 s[0:1], 5, v128
	v_fma_f64 v[126:127], v[110:111], s[16:17], -v[74:75]
	v_mul_f64 v[74:75], v[90:91], s[20:21]
	v_add_f64 v[86:87], v[70:71], v[108:109]
	v_add_f64 v[70:71], v[70:71], -v[108:109]
	v_cndmask_b32_e64 v108, 0, 60, s[0:1]
	v_fmac_f64_e32 v[118:119], s[20:21], v[104:105]
	v_fma_f64 v[140:141], v[122:123], s[18:19], -v[74:75]
	v_mul_f64 v[104:105], v[122:123], s[20:21]
	v_add_u32_e32 v108, v139, v108
	v_add_f64 v[72:73], v[98:99], v[92:93]
	v_add_f64 v[74:75], v[94:95], v[120:121]
	v_fma_f64 v[110:111], v[90:91], s[14:15], -v[104:105]
	v_add_f64 v[104:105], v[102:103], -v[140:141]
	v_lshl_add_u32 v139, v108, 4, v136
	v_add_f64 v[76:77], v[96:97], v[118:119]
	v_add_f64 v[80:81], v[100:101], v[124:125]
	;; [unrolled: 1-line block ×7, first 2 shown]
	v_add_f64 v[92:93], v[98:99], -v[92:93]
	v_add_f64 v[96:97], v[96:97], -v[118:119]
	;; [unrolled: 1-line block ×8, first 2 shown]
	ds_write_b128 v139, v[72:75]
	ds_write_b128 v139, v[76:79] offset:96
	ds_write_b128 v139, v[80:83] offset:192
	;; [unrolled: 1-line block ×9, first 2 shown]
	v_lshlrev_b32_e32 v104, 4, v128
	s_waitcnt lgkmcnt(0)
	; wave barrier
	s_waitcnt lgkmcnt(0)
	global_load_dwordx4 v[68:71], v104, s[8:9] offset:864
	global_load_dwordx4 v[72:75], v104, s[8:9] offset:1056
	v_or_b32_e32 v84, 48, v128
	v_mov_b32_e32 v85, v129
	v_lshl_add_u64 v[86:87], v[128:129], 0, -12
	v_cmp_gt_u64_e64 s[0:1], 60, v[84:85]
	global_load_dwordx4 v[76:79], v104, s[8:9] offset:1248
	global_load_dwordx4 v[80:83], v104, s[8:9] offset:1440
	v_cndmask_b32_e64 v126, v86, v84, s[0:1]
	v_cndmask_b32_e64 v127, v87, 0, s[0:1]
	v_lshl_add_u64 v[84:85], v[126:127], 4, s[8:9]
	global_load_dwordx4 v[84:87], v[84:85], off offset:864
	ds_read_b128 v[88:91], v133 offset:960
	ds_read_b128 v[92:95], v133
	ds_read_b128 v[96:99], v133 offset:192
	ds_read_b128 v[100:103], v133 offset:1152
	;; [unrolled: 1-line block ×8, first 2 shown]
	v_lshl_add_u32 v129, v126, 4, v136
	s_add_u32 s8, s12, 0x780
	s_addc_u32 s9, s13, 0
	s_waitcnt vmcnt(4) lgkmcnt(9)
	v_mul_f64 v[144:145], v[90:91], v[70:71]
	v_fma_f64 v[144:145], v[88:89], v[68:69], -v[144:145]
	v_mul_f64 v[88:89], v[88:89], v[70:71]
	v_fmac_f64_e32 v[88:89], v[90:91], v[68:69]
	s_waitcnt vmcnt(3) lgkmcnt(6)
	v_mul_f64 v[90:91], v[102:103], v[74:75]
	v_fma_f64 v[90:91], v[100:101], v[72:73], -v[90:91]
	v_mul_f64 v[100:101], v[100:101], v[74:75]
	v_fmac_f64_e32 v[100:101], v[102:103], v[72:73]
	s_waitcnt vmcnt(2) lgkmcnt(5)
	v_mul_f64 v[102:103], v[108:109], v[78:79]
	v_fma_f64 v[102:103], v[106:107], v[76:77], -v[102:103]
	v_mul_f64 v[150:151], v[106:107], v[78:79]
	s_waitcnt vmcnt(1) lgkmcnt(1)
	v_mul_f64 v[106:107], v[124:125], v[82:83]
	v_fma_f64 v[152:153], v[122:123], v[80:81], -v[106:107]
	s_waitcnt vmcnt(0) lgkmcnt(0)
	v_mul_f64 v[106:107], v[142:143], v[86:87]
	v_mul_f64 v[158:159], v[140:141], v[86:87]
	;; [unrolled: 1-line block ×3, first 2 shown]
	v_fma_f64 v[156:157], v[140:141], v[84:85], -v[106:107]
	v_fmac_f64_e32 v[158:159], v[142:143], v[84:85]
	v_fmac_f64_e32 v[150:151], v[108:109], v[76:77]
	;; [unrolled: 1-line block ×3, first 2 shown]
	v_add_f64 v[106:107], v[92:93], -v[144:145]
	v_add_f64 v[108:109], v[94:95], -v[88:89]
	;; [unrolled: 1-line block ×7, first 2 shown]
	v_fma_f64 v[122:123], v[92:93], 2.0, -v[106:107]
	v_fma_f64 v[124:125], v[94:95], 2.0, -v[108:109]
	;; [unrolled: 1-line block ×4, first 2 shown]
	v_add_f64 v[150:151], v[112:113], -v[150:151]
	v_add_f64 v[88:89], v[114:115], -v[152:153]
	;; [unrolled: 1-line block ×3, first 2 shown]
	v_fma_f64 v[96:97], v[118:119], 2.0, -v[100:101]
	v_fma_f64 v[98:99], v[120:121], 2.0, -v[102:103]
	;; [unrolled: 1-line block ×6, first 2 shown]
	ds_write_b128 v133, v[122:125]
	ds_write_b128 v133, v[106:109] offset:960
	ds_write_b128 v133, v[144:147] offset:192
	;; [unrolled: 1-line block ×7, first 2 shown]
	ds_write_b128 v129, v[96:99]
	ds_write_b128 v129, v[100:103] offset:960
	s_waitcnt lgkmcnt(0)
	; wave barrier
	s_waitcnt lgkmcnt(0)
	global_load_dwordx4 v[106:109], v[130:131], off offset:1920
	global_load_dwordx4 v[110:113], v104, s[8:9] offset:320
	global_load_dwordx4 v[114:117], v104, s[8:9] offset:640
	;; [unrolled: 1-line block ×5, first 2 shown]
	ds_read_b128 v[144:147], v133
	ds_read_b128 v[148:151], v133 offset:320
	s_waitcnt vmcnt(5) lgkmcnt(1)
	v_mul_f64 v[126:127], v[146:147], v[108:109]
	v_mul_f64 v[154:155], v[144:145], v[108:109]
	v_fma_f64 v[152:153], v[144:145], v[106:107], -v[126:127]
	v_fmac_f64_e32 v[154:155], v[146:147], v[106:107]
	s_waitcnt vmcnt(4) lgkmcnt(0)
	v_mul_f64 v[106:107], v[150:151], v[112:113]
	ds_read_b128 v[144:147], v133 offset:640
	v_mul_f64 v[108:109], v[148:149], v[112:113]
	v_fma_f64 v[106:107], v[148:149], v[110:111], -v[106:107]
	v_fmac_f64_e32 v[108:109], v[150:151], v[110:111]
	ds_write_b128 v133, v[106:109] offset:320
	ds_read_b128 v[106:109], v133 offset:960
	s_waitcnt vmcnt(3) lgkmcnt(2)
	v_mul_f64 v[110:111], v[146:147], v[116:117]
	v_mul_f64 v[112:113], v[144:145], v[116:117]
	v_fma_f64 v[110:111], v[144:145], v[114:115], -v[110:111]
	v_fmac_f64_e32 v[112:113], v[146:147], v[114:115]
	ds_read_b128 v[114:117], v133 offset:1280
	ds_write_b128 v133, v[110:113] offset:640
	s_waitcnt vmcnt(2) lgkmcnt(2)
	v_mul_f64 v[110:111], v[108:109], v[120:121]
	v_mul_f64 v[112:113], v[106:107], v[120:121]
	v_fma_f64 v[110:111], v[106:107], v[118:119], -v[110:111]
	v_fmac_f64_e32 v[112:113], v[108:109], v[118:119]
	ds_read_b128 v[106:109], v133 offset:1600
	ds_write_b128 v133, v[110:113] offset:960
	s_waitcnt vmcnt(1) lgkmcnt(3)
	v_mul_f64 v[110:111], v[116:117], v[124:125]
	v_mul_f64 v[112:113], v[114:115], v[124:125]
	v_fma_f64 v[110:111], v[114:115], v[122:123], -v[110:111]
	v_fmac_f64_e32 v[112:113], v[116:117], v[122:123]
	ds_write_b128 v133, v[110:113] offset:1280
	s_waitcnt vmcnt(0) lgkmcnt(2)
	v_mul_f64 v[110:111], v[108:109], v[142:143]
	v_mul_f64 v[112:113], v[106:107], v[142:143]
	v_fma_f64 v[110:111], v[106:107], v[140:141], -v[110:111]
	v_fmac_f64_e32 v[112:113], v[108:109], v[140:141]
	ds_write_b128 v133, v[152:155]
	ds_write_b128 v133, v[110:113] offset:1600
	s_and_saveexec_b64 s[0:1], vcc
	s_cbranch_execz .LBB0_9
; %bb.8:
	v_mov_b32_e32 v105, 0
	v_lshl_add_u64 v[116:117], s[8:9], 0, v[104:105]
	global_load_dwordx4 v[108:111], v[116:117], off offset:192
	ds_read_b128 v[104:107], v133 offset:192
	s_waitcnt vmcnt(0) lgkmcnt(0)
	v_mul_f64 v[112:113], v[106:107], v[110:111]
	v_mul_f64 v[114:115], v[104:105], v[110:111]
	v_fma_f64 v[112:113], v[104:105], v[108:109], -v[112:113]
	v_fmac_f64_e32 v[114:115], v[106:107], v[108:109]
	global_load_dwordx4 v[108:111], v[116:117], off offset:512
	ds_read_b128 v[104:107], v133 offset:512
	ds_write_b128 v133, v[112:115] offset:192
	s_waitcnt vmcnt(0) lgkmcnt(1)
	v_mul_f64 v[112:113], v[106:107], v[110:111]
	v_mul_f64 v[114:115], v[104:105], v[110:111]
	v_fma_f64 v[112:113], v[104:105], v[108:109], -v[112:113]
	v_fmac_f64_e32 v[114:115], v[106:107], v[108:109]
	global_load_dwordx4 v[108:111], v[116:117], off offset:832
	ds_read_b128 v[104:107], v133 offset:832
	ds_write_b128 v133, v[112:115] offset:512
	;; [unrolled: 8-line block ×5, first 2 shown]
	s_waitcnt vmcnt(0) lgkmcnt(1)
	v_mul_f64 v[112:113], v[106:107], v[110:111]
	v_mul_f64 v[114:115], v[104:105], v[110:111]
	v_fma_f64 v[112:113], v[104:105], v[108:109], -v[112:113]
	v_fmac_f64_e32 v[114:115], v[106:107], v[108:109]
	ds_write_b128 v133, v[112:115] offset:1792
.LBB0_9:
	s_or_b64 exec, exec, s[0:1]
	s_waitcnt lgkmcnt(0)
	; wave barrier
	s_waitcnt lgkmcnt(0)
	ds_read_b128 v[104:107], v133
	ds_read_b128 v[108:111], v133 offset:320
	ds_read_b128 v[120:123], v133 offset:640
	;; [unrolled: 1-line block ×5, first 2 shown]
	s_and_saveexec_b64 s[0:1], vcc
	s_cbranch_execz .LBB0_11
; %bb.10:
	v_lshl_add_u32 v28, v128, 4, v136
	ds_read_b128 v[92:95], v133 offset:192
	ds_read_b128 v[88:91], v28 offset:512
	;; [unrolled: 1-line block ×6, first 2 shown]
.LBB0_11:
	s_or_b64 exec, exec, s[0:1]
	s_waitcnt lgkmcnt(1)
	v_add_f64 v[144:145], v[120:121], v[124:125]
	s_mov_b32 s0, 0xe8584caa
	v_add_f64 v[142:143], v[104:105], v[120:121]
	v_fmac_f64_e32 v[104:105], -0.5, v[144:145]
	v_add_f64 v[144:145], v[122:123], -v[126:127]
	s_mov_b32 s1, 0xbfebb67a
	s_mov_b32 s9, 0x3febb67a
	;; [unrolled: 1-line block ×3, first 2 shown]
	v_fma_f64 v[146:147], s[0:1], v[144:145], v[104:105]
	v_fmac_f64_e32 v[104:105], s[8:9], v[144:145]
	v_add_f64 v[144:145], v[106:107], v[122:123]
	v_add_f64 v[122:123], v[122:123], v[126:127]
	v_fmac_f64_e32 v[106:107], -0.5, v[122:123]
	v_add_f64 v[120:121], v[120:121], -v[124:125]
	v_add_f64 v[144:145], v[144:145], v[126:127]
	v_fma_f64 v[126:127], s[8:9], v[120:121], v[106:107]
	v_fmac_f64_e32 v[106:107], s[0:1], v[120:121]
	v_add_f64 v[120:121], v[108:109], v[112:113]
	v_add_f64 v[142:143], v[142:143], v[124:125]
	s_waitcnt lgkmcnt(0)
	v_add_f64 v[124:125], v[120:121], v[116:117]
	v_add_f64 v[120:121], v[112:113], v[116:117]
	v_fmac_f64_e32 v[108:109], -0.5, v[120:121]
	v_add_f64 v[120:121], v[114:115], -v[118:119]
	v_fma_f64 v[122:123], s[0:1], v[120:121], v[108:109]
	v_fmac_f64_e32 v[108:109], s[8:9], v[120:121]
	v_add_f64 v[120:121], v[110:111], v[114:115]
	v_add_f64 v[114:115], v[114:115], v[118:119]
	v_fmac_f64_e32 v[110:111], -0.5, v[114:115]
	v_add_f64 v[112:113], v[112:113], -v[116:117]
	v_add_f64 v[148:149], v[120:121], v[118:119]
	v_fma_f64 v[118:119], s[8:9], v[112:113], v[110:111]
	v_fmac_f64_e32 v[110:111], s[0:1], v[112:113]
	v_mul_f64 v[150:151], v[118:119], s[0:1]
	v_mul_f64 v[152:153], v[110:111], s[0:1]
	v_mul_f64 v[154:155], v[118:119], 0.5
	v_mul_f64 v[156:157], v[110:111], -0.5
	v_add_u32_e32 v141, 0x180, v133
	v_add_u32_e32 v140, 0x240, v133
	v_add_f64 v[112:113], v[142:143], v[124:125]
	v_fmac_f64_e32 v[150:151], 0.5, v[122:123]
	v_fmac_f64_e32 v[152:153], -0.5, v[108:109]
	v_add_f64 v[114:115], v[144:145], v[148:149]
	v_fmac_f64_e32 v[154:155], s[8:9], v[122:123]
	v_fmac_f64_e32 v[156:157], s[8:9], v[108:109]
	v_add_f64 v[116:117], v[146:147], v[150:151]
	v_add_f64 v[120:121], v[104:105], v[152:153]
	;; [unrolled: 1-line block ×4, first 2 shown]
	v_add_f64 v[108:109], v[142:143], -v[124:125]
	v_add_f64 v[124:125], v[146:147], -v[150:151]
	;; [unrolled: 1-line block ×6, first 2 shown]
	s_waitcnt lgkmcnt(0)
	; wave barrier
	ds_write_b128 v138, v[112:115]
	ds_write_b128 v138, v[116:119] offset:16
	ds_write_b128 v138, v[120:123] offset:32
	;; [unrolled: 1-line block ×5, first 2 shown]
	s_and_saveexec_b64 s[10:11], vcc
	s_cbranch_execz .LBB0_13
; %bb.12:
	v_add_f64 v[104:105], v[98:99], v[26:27]
	v_fma_f64 v[110:111], -0.5, v[104:105], v[94:95]
	v_add_f64 v[104:105], v[100:101], v[28:29]
	v_fma_f64 v[114:115], -0.5, v[104:105], v[88:89]
	;; [unrolled: 2-line block ×3, first 2 shown]
	v_add_f64 v[90:91], v[90:91], v[102:103]
	v_add_f64 v[94:95], v[94:95], v[98:99]
	;; [unrolled: 1-line block ×4, first 2 shown]
	v_add_f64 v[120:121], v[100:101], -v[28:29]
	v_add_f64 v[94:95], v[94:95], v[26:27]
	v_fma_f64 v[142:143], -0.5, v[90:91], v[92:93]
	v_add_f64 v[26:27], v[98:99], -v[26:27]
	v_add_f64 v[108:109], v[102:103], -v[30:31]
	v_fma_f64 v[122:123], s[0:1], v[120:121], v[118:119]
	v_fma_f64 v[98:99], s[8:9], v[26:27], v[142:143]
	v_fmac_f64_e32 v[142:143], s[0:1], v[26:27]
	v_add_f64 v[26:27], v[92:93], v[96:97]
	v_add_f64 v[106:107], v[96:97], -v[24:25]
	v_fma_f64 v[116:117], s[8:9], v[108:109], v[114:115]
	v_mul_f64 v[124:125], v[122:123], -0.5
	v_fmac_f64_e32 v[118:119], s[8:9], v[120:121]
	v_mul_f64 v[122:123], v[122:123], s[0:1]
	v_add_f64 v[92:93], v[26:27], v[24:25]
	v_add_f64 v[24:25], v[88:89], v[100:101]
	v_fmac_f64_e32 v[124:125], s[8:9], v[116:117]
	v_fmac_f64_e32 v[114:115], s[0:1], v[108:109]
	v_mul_f64 v[120:121], v[118:119], 0.5
	v_fmac_f64_e32 v[122:123], -0.5, v[116:117]
	v_mul_f64 v[116:117], v[118:119], s[0:1]
	v_add_f64 v[96:97], v[24:25], v[28:29]
	v_fma_f64 v[112:113], s[0:1], v[106:107], v[110:111]
	v_fmac_f64_e32 v[110:111], s[8:9], v[106:107]
	v_fmac_f64_e32 v[120:121], s[8:9], v[114:115]
	v_add_f64 v[30:31], v[94:95], -v[126:127]
	v_fmac_f64_e32 v[116:117], 0.5, v[114:115]
	v_add_f64 v[28:29], v[92:93], -v[96:97]
	v_add_f64 v[94:95], v[94:95], v[126:127]
	v_add_f64 v[92:93], v[92:93], v[96:97]
	v_lshl_add_u32 v96, v137, 4, v136
	v_add_f64 v[104:105], v[112:113], -v[124:125]
	v_add_f64 v[108:109], v[110:111], -v[120:121]
	;; [unrolled: 1-line block ×4, first 2 shown]
	v_add_f64 v[26:27], v[112:113], v[124:125]
	v_add_f64 v[90:91], v[110:111], v[120:121]
	;; [unrolled: 1-line block ×4, first 2 shown]
	ds_write_b128 v96, v[92:95]
	ds_write_b128 v96, v[88:91] offset:16
	ds_write_b128 v96, v[24:27] offset:32
	;; [unrolled: 1-line block ×5, first 2 shown]
.LBB0_13:
	s_or_b64 exec, exec, s[10:11]
	s_waitcnt lgkmcnt(0)
	; wave barrier
	s_waitcnt lgkmcnt(0)
	ds_read_b128 v[24:27], v133
	ds_read_b128 v[92:95], v133 offset:192
	ds_read_b128 v[96:99], v133 offset:384
	;; [unrolled: 1-line block ×9, first 2 shown]
	s_waitcnt lgkmcnt(8)
	v_mul_f64 v[90:91], v[46:47], v[94:95]
	v_mul_f64 v[46:47], v[46:47], v[92:93]
	v_fmac_f64_e32 v[90:91], v[44:45], v[92:93]
	v_fma_f64 v[44:45], v[44:45], v[94:95], -v[46:47]
	s_waitcnt lgkmcnt(7)
	v_mul_f64 v[46:47], v[42:43], v[98:99]
	v_mul_f64 v[42:43], v[42:43], v[96:97]
	v_fmac_f64_e32 v[46:47], v[40:41], v[96:97]
	v_fma_f64 v[40:41], v[40:41], v[98:99], -v[42:43]
	;; [unrolled: 5-line block ×8, first 2 shown]
	v_add_f64 v[92:93], v[38:39], v[62:63]
	s_mov_b32 s12, 0x134454ff
	v_mov_b32_e32 v28, s2
	v_mov_b32_e32 v29, s3
	v_mad_u64_u32 v[30:31], s[0:1], s6, v132, 0
	v_fma_f64 v[92:93], -0.5, v[92:93], v[24:25]
	v_add_f64 v[94:95], v[40:41], -v[48:49]
	s_mov_b32 s13, 0xbfee6f0e
	s_mov_b32 s10, 0x4755a5e
	;; [unrolled: 1-line block ×4, first 2 shown]
	v_fma_f64 v[96:97], s[12:13], v[94:95], v[92:93]
	v_add_f64 v[98:99], v[32:33], -v[56:57]
	s_mov_b32 s11, 0xbfe2cf23
	v_add_f64 v[100:101], v[46:47], -v[38:39]
	v_add_f64 v[102:103], v[54:55], -v[62:63]
	s_mov_b32 s8, 0x372fe950
	v_fmac_f64_e32 v[92:93], s[2:3], v[94:95]
	s_mov_b32 s1, 0x3fe2cf23
	s_mov_b32 s0, s10
	v_fmac_f64_e32 v[96:97], s[10:11], v[98:99]
	v_add_f64 v[100:101], v[100:101], v[102:103]
	s_mov_b32 s9, 0x3fd3c6ef
	v_fmac_f64_e32 v[92:93], s[0:1], v[98:99]
	s_waitcnt lgkmcnt(0)
	v_mul_f64 v[50:51], v[66:67], v[126:127]
	v_mul_f64 v[66:67], v[66:67], v[124:125]
	v_fmac_f64_e32 v[96:97], s[8:9], v[100:101]
	v_fmac_f64_e32 v[92:93], s[8:9], v[100:101]
	v_add_f64 v[100:101], v[46:47], v[54:55]
	v_fmac_f64_e32 v[50:51], v[64:65], v[124:125]
	v_fma_f64 v[64:65], v[64:65], v[126:127], -v[66:67]
	v_add_f64 v[66:67], v[24:25], v[46:47]
	v_fmac_f64_e32 v[24:25], -0.5, v[100:101]
	v_add_f64 v[66:67], v[66:67], v[38:39]
	v_fma_f64 v[100:101], s[2:3], v[98:99], v[24:25]
	v_add_f64 v[102:103], v[38:39], -v[46:47]
	v_add_f64 v[104:105], v[62:63], -v[54:55]
	v_fmac_f64_e32 v[24:25], s[12:13], v[98:99]
	v_add_f64 v[98:99], v[32:33], v[56:57]
	v_add_f64 v[66:67], v[66:67], v[62:63]
	v_fmac_f64_e32 v[100:101], s[10:11], v[94:95]
	v_add_f64 v[102:103], v[102:103], v[104:105]
	v_fmac_f64_e32 v[24:25], s[0:1], v[94:95]
	v_fma_f64 v[98:99], -0.5, v[98:99], v[26:27]
	v_add_f64 v[46:47], v[46:47], -v[54:55]
	v_add_f64 v[66:67], v[66:67], v[54:55]
	v_fmac_f64_e32 v[100:101], s[8:9], v[102:103]
	v_fmac_f64_e32 v[24:25], s[8:9], v[102:103]
	v_fma_f64 v[102:103], s[2:3], v[46:47], v[98:99]
	v_add_f64 v[38:39], v[38:39], -v[62:63]
	v_add_f64 v[54:55], v[40:41], -v[32:33]
	;; [unrolled: 1-line block ×3, first 2 shown]
	v_fmac_f64_e32 v[98:99], s[12:13], v[46:47]
	v_fmac_f64_e32 v[102:103], s[0:1], v[38:39]
	v_add_f64 v[54:55], v[54:55], v[62:63]
	v_fmac_f64_e32 v[98:99], s[10:11], v[38:39]
	v_fmac_f64_e32 v[102:103], s[8:9], v[54:55]
	;; [unrolled: 1-line block ×3, first 2 shown]
	v_add_f64 v[54:55], v[40:41], v[48:49]
	v_add_f64 v[94:95], v[26:27], v[40:41]
	v_fmac_f64_e32 v[26:27], -0.5, v[54:55]
	v_add_f64 v[94:95], v[94:95], v[32:33]
	v_fma_f64 v[104:105], s[12:13], v[38:39], v[26:27]
	v_add_f64 v[32:33], v[32:33], -v[40:41]
	v_add_f64 v[40:41], v[56:57], -v[48:49]
	v_fmac_f64_e32 v[26:27], s[2:3], v[38:39]
	v_fmac_f64_e32 v[104:105], s[0:1], v[46:47]
	v_add_f64 v[32:33], v[32:33], v[40:41]
	v_fmac_f64_e32 v[26:27], s[10:11], v[46:47]
	v_fmac_f64_e32 v[104:105], s[8:9], v[32:33]
	v_fmac_f64_e32 v[26:27], s[8:9], v[32:33]
	v_add_f64 v[32:33], v[90:91], v[42:43]
	v_add_f64 v[32:33], v[32:33], v[34:35]
	;; [unrolled: 1-line block ×6, first 2 shown]
	v_fma_f64 v[56:57], -0.5, v[32:33], v[90:91]
	v_add_f64 v[32:33], v[36:37], -v[64:65]
	v_add_f64 v[94:95], v[94:95], v[48:49]
	v_fma_f64 v[38:39], s[12:13], v[32:33], v[56:57]
	v_add_f64 v[40:41], v[60:61], -v[52:53]
	v_add_f64 v[46:47], v[42:43], -v[34:35]
	;; [unrolled: 1-line block ×3, first 2 shown]
	v_fmac_f64_e32 v[56:57], s[2:3], v[32:33]
	v_fmac_f64_e32 v[38:39], s[10:11], v[40:41]
	v_add_f64 v[46:47], v[46:47], v[48:49]
	v_fmac_f64_e32 v[56:57], s[0:1], v[40:41]
	v_fmac_f64_e32 v[38:39], s[8:9], v[46:47]
	;; [unrolled: 1-line block ×3, first 2 shown]
	v_add_f64 v[46:47], v[42:43], v[50:51]
	v_fmac_f64_e32 v[90:91], -0.5, v[46:47]
	v_fma_f64 v[48:49], s[2:3], v[40:41], v[90:91]
	v_fmac_f64_e32 v[90:91], s[12:13], v[40:41]
	v_fmac_f64_e32 v[48:49], s[10:11], v[32:33]
	;; [unrolled: 1-line block ×3, first 2 shown]
	v_add_f64 v[32:33], v[44:45], v[36:37]
	v_add_f64 v[32:33], v[32:33], v[60:61]
	;; [unrolled: 1-line block ×3, first 2 shown]
	v_add_f64 v[46:47], v[34:35], -v[42:43]
	v_add_f64 v[62:63], v[58:59], -v[50:51]
	v_add_f64 v[106:107], v[32:33], v[64:65]
	v_add_f64 v[32:33], v[60:61], v[52:53]
	;; [unrolled: 1-line block ×3, first 2 shown]
	v_fma_f64 v[62:63], -0.5, v[32:33], v[44:45]
	v_add_f64 v[32:33], v[42:43], -v[50:51]
	v_fmac_f64_e32 v[48:49], s[8:9], v[46:47]
	v_fmac_f64_e32 v[90:91], s[8:9], v[46:47]
	v_fma_f64 v[42:43], s[2:3], v[32:33], v[62:63]
	v_add_f64 v[34:35], v[34:35], -v[58:59]
	v_add_f64 v[40:41], v[36:37], -v[60:61]
	;; [unrolled: 1-line block ×3, first 2 shown]
	v_fmac_f64_e32 v[62:63], s[12:13], v[32:33]
	v_fmac_f64_e32 v[42:43], s[0:1], v[34:35]
	v_add_f64 v[40:41], v[40:41], v[46:47]
	v_fmac_f64_e32 v[62:63], s[10:11], v[34:35]
	v_fmac_f64_e32 v[42:43], s[8:9], v[40:41]
	v_fmac_f64_e32 v[62:63], s[8:9], v[40:41]
	v_add_f64 v[40:41], v[36:37], v[64:65]
	v_fmac_f64_e32 v[44:45], -0.5, v[40:41]
	v_fma_f64 v[58:59], s[12:13], v[34:35], v[44:45]
	v_add_f64 v[36:37], v[60:61], -v[36:37]
	v_add_f64 v[40:41], v[52:53], -v[64:65]
	v_fmac_f64_e32 v[44:45], s[2:3], v[34:35]
	v_fmac_f64_e32 v[58:59], s[0:1], v[32:33]
	v_add_f64 v[36:37], v[36:37], v[40:41]
	v_fmac_f64_e32 v[44:45], s[10:11], v[32:33]
	v_fmac_f64_e32 v[58:59], s[8:9], v[36:37]
	;; [unrolled: 1-line block ×3, first 2 shown]
	s_mov_b32 s14, 0x9b97f4a8
	v_mul_f64 v[60:61], v[42:43], s[10:11]
	s_mov_b32 s15, 0x3fe9e377
	v_mul_f64 v[64:65], v[58:59], s[12:13]
	v_mul_f64 v[108:109], v[44:45], s[12:13]
	s_mov_b32 s13, 0xbfd3c6ef
	s_mov_b32 s12, s8
	v_mul_f64 v[110:111], v[62:63], s[10:11]
	s_mov_b32 s11, 0xbfe9e377
	s_mov_b32 s10, s14
	v_mul_f64 v[112:113], v[42:43], s[14:15]
	v_mul_f64 v[114:115], v[58:59], s[8:9]
	;; [unrolled: 1-line block ×4, first 2 shown]
	v_fmac_f64_e32 v[60:61], s[14:15], v[38:39]
	v_fmac_f64_e32 v[64:65], s[8:9], v[48:49]
	;; [unrolled: 1-line block ×8, first 2 shown]
	v_add_f64 v[32:33], v[66:67], v[54:55]
	v_add_f64 v[36:37], v[96:97], v[60:61]
	;; [unrolled: 1-line block ×10, first 2 shown]
	v_add_f64 v[54:55], v[66:67], -v[54:55]
	v_add_f64 v[58:59], v[96:97], -v[60:61]
	;; [unrolled: 1-line block ×10, first 2 shown]
	s_waitcnt lgkmcnt(0)
	; wave barrier
	ds_write_b128 v139, v[32:35]
	ds_write_b128 v139, v[36:39] offset:96
	ds_write_b128 v139, v[40:43] offset:192
	;; [unrolled: 1-line block ×9, first 2 shown]
	s_waitcnt lgkmcnt(0)
	; wave barrier
	s_waitcnt lgkmcnt(0)
	ds_read_b128 v[24:27], v133 offset:960
	ds_read_b128 v[32:35], v133
	ds_read_b128 v[36:39], v133 offset:192
	ds_read_b128 v[40:43], v133 offset:1152
	;; [unrolled: 1-line block ×8, first 2 shown]
	s_waitcnt lgkmcnt(9)
	v_mul_f64 v[90:91], v[70:71], v[26:27]
	v_fmac_f64_e32 v[90:91], v[68:69], v[24:25]
	v_mul_f64 v[24:25], v[70:71], v[24:25]
	v_fma_f64 v[26:27], v[68:69], v[26:27], -v[24:25]
	s_waitcnt lgkmcnt(6)
	v_mul_f64 v[24:25], v[74:75], v[40:41]
	v_mul_f64 v[68:69], v[74:75], v[42:43]
	v_fma_f64 v[42:43], v[72:73], v[42:43], -v[24:25]
	s_waitcnt lgkmcnt(5)
	v_mul_f64 v[24:25], v[78:79], v[44:45]
	v_mul_f64 v[70:71], v[78:79], v[46:47]
	v_fma_f64 v[46:47], v[76:77], v[46:47], -v[24:25]
	s_waitcnt lgkmcnt(1)
	v_mul_f64 v[24:25], v[82:83], v[60:61]
	v_fmac_f64_e32 v[68:69], v[72:73], v[40:41]
	v_mul_f64 v[72:73], v[82:83], v[62:63]
	v_fma_f64 v[62:63], v[80:81], v[62:63], -v[24:25]
	s_waitcnt lgkmcnt(0)
	v_mul_f64 v[74:75], v[86:87], v[66:67]
	v_mul_f64 v[24:25], v[86:87], v[64:65]
	v_fmac_f64_e32 v[70:71], v[76:77], v[44:45]
	v_fmac_f64_e32 v[72:73], v[80:81], v[60:61]
	;; [unrolled: 1-line block ×3, first 2 shown]
	v_fma_f64 v[66:67], v[84:85], v[66:67], -v[24:25]
	v_add_f64 v[24:25], v[32:33], -v[90:91]
	v_add_f64 v[26:27], v[34:35], -v[26:27]
	v_fma_f64 v[32:33], v[32:33], 2.0, -v[24:25]
	v_fma_f64 v[34:35], v[34:35], 2.0, -v[26:27]
	v_add_f64 v[40:41], v[36:37], -v[68:69]
	v_add_f64 v[42:43], v[38:39], -v[42:43]
	;; [unrolled: 1-line block ×8, first 2 shown]
	v_fma_f64 v[36:37], v[36:37], 2.0, -v[40:41]
	v_fma_f64 v[38:39], v[38:39], 2.0, -v[42:43]
	;; [unrolled: 1-line block ×8, first 2 shown]
	ds_write_b128 v133, v[32:35]
	ds_write_b128 v133, v[24:27] offset:960
	ds_write_b128 v133, v[36:39] offset:192
	;; [unrolled: 1-line block ×7, first 2 shown]
	ds_write_b128 v129, v[56:59]
	ds_write_b128 v129, v[64:67] offset:960
	s_waitcnt lgkmcnt(0)
	; wave barrier
	s_waitcnt lgkmcnt(0)
	ds_read_b128 v[24:27], v133
	v_mov_b32_e32 v88, v31
	v_mad_u64_u32 v[32:33], s[0:1], s7, v132, v[88:89]
	v_mov_b32_e32 v31, v32
	ds_read_b128 v[32:35], v133 offset:320
	s_waitcnt lgkmcnt(1)
	v_mul_f64 v[36:37], v[22:23], v[26:27]
	s_mov_b32 s0, 0x11111111
	v_mul_f64 v[22:23], v[22:23], v[24:25]
	v_fmac_f64_e32 v[36:37], v[20:21], v[24:25]
	s_mov_b32 s1, 0x3f811111
	v_fma_f64 v[20:21], v[20:21], v[26:27], -v[22:23]
	v_mad_u64_u32 v[22:23], s[2:3], s4, v128, 0
	v_mul_f64 v[38:39], v[20:21], s[0:1]
	v_mov_b32_e32 v20, v23
	v_mad_u64_u32 v[20:21], s[2:3], s5, v128, v[20:21]
	v_mov_b32_e32 v23, v20
	v_lshl_add_u64 v[20:21], v[30:31], 4, v[28:29]
	v_lshl_add_u64 v[26:27], v[22:23], 4, v[20:21]
	s_waitcnt lgkmcnt(0)
	v_mul_f64 v[22:23], v[18:19], v[34:35]
	v_mul_f64 v[18:19], v[18:19], v[32:33]
	v_fmac_f64_e32 v[22:23], v[16:17], v[32:33]
	v_fma_f64 v[16:17], v[16:17], v[34:35], -v[18:19]
	v_mov_b32_e32 v32, 0x140
	v_mul_f64 v[24:25], v[16:17], s[0:1]
	v_mad_u64_u32 v[30:31], s[2:3], s4, v32, v[26:27]
	ds_read_b128 v[16:19], v133 offset:640
	s_mul_i32 s6, s5, 0x140
	v_mul_f64 v[36:37], v[36:37], s[0:1]
	v_mul_f64 v[22:23], v[22:23], s[0:1]
	v_add_u32_e32 v31, s6, v31
	global_store_dwordx4 v[26:27], v[36:39], off
	global_store_dwordx4 v[30:31], v[22:25], off
	ds_read_b128 v[22:25], v133 offset:960
	s_waitcnt lgkmcnt(1)
	v_mul_f64 v[26:27], v[14:15], v[18:19]
	v_mul_f64 v[14:15], v[14:15], v[16:17]
	v_fmac_f64_e32 v[26:27], v[12:13], v[16:17]
	v_fma_f64 v[12:13], v[12:13], v[18:19], -v[14:15]
	v_mul_f64 v[28:29], v[12:13], s[0:1]
	s_waitcnt lgkmcnt(0)
	v_mul_f64 v[12:13], v[10:11], v[24:25]
	v_mul_f64 v[10:11], v[10:11], v[22:23]
	v_fmac_f64_e32 v[12:13], v[8:9], v[22:23]
	v_fma_f64 v[8:9], v[8:9], v[24:25], -v[10:11]
	v_mul_f64 v[14:15], v[8:9], s[0:1]
	ds_read_b128 v[8:11], v133 offset:1280
	v_mad_u64_u32 v[16:17], s[2:3], s4, v32, v[30:31]
	v_add_u32_e32 v17, s6, v17
	v_mad_u64_u32 v[22:23], s[2:3], s4, v32, v[16:17]
	v_mul_f64 v[26:27], v[26:27], s[0:1]
	v_mul_f64 v[12:13], v[12:13], s[0:1]
	v_add_u32_e32 v23, s6, v23
	global_store_dwordx4 v[16:17], v[26:29], off
	global_store_dwordx4 v[22:23], v[12:15], off
	ds_read_b128 v[12:15], v133 offset:1600
	s_waitcnt lgkmcnt(1)
	v_mul_f64 v[16:17], v[2:3], v[10:11]
	v_mul_f64 v[2:3], v[2:3], v[8:9]
	v_fmac_f64_e32 v[16:17], v[0:1], v[8:9]
	v_fma_f64 v[0:1], v[0:1], v[10:11], -v[2:3]
	v_mul_f64 v[18:19], v[0:1], s[0:1]
	v_mad_u64_u32 v[0:1], s[2:3], s4, v135, 0
	v_mov_b32_e32 v2, v1
	v_mad_u64_u32 v[2:3], s[2:3], s5, v135, v[2:3]
	v_mov_b32_e32 v1, v2
	v_mul_f64 v[16:17], v[16:17], s[0:1]
	v_lshl_add_u64 v[0:1], v[0:1], 4, v[20:21]
	global_store_dwordx4 v[0:1], v[16:19], off
	s_waitcnt lgkmcnt(0)
	v_mul_f64 v[0:1], v[6:7], v[14:15]
	v_fmac_f64_e32 v[0:1], v[4:5], v[12:13]
	v_mul_f64 v[2:3], v[0:1], s[0:1]
	v_mul_f64 v[0:1], v[6:7], v[12:13]
	s_mul_i32 s2, s5, 40
	s_mul_hi_u32 s3, s4, 40
	v_fma_f64 v[0:1], v[4:5], v[14:15], -v[0:1]
	s_add_i32 s3, s3, s2
	s_mul_i32 s2, s4, 40
	v_mul_f64 v[4:5], v[0:1], s[0:1]
	v_lshl_add_u64 v[0:1], s[2:3], 4, v[22:23]
	global_store_dwordx4 v[0:1], v[2:5], off
	s_and_b64 exec, exec, vcc
	s_cbranch_execz .LBB0_15
; %bb.14:
	global_load_dwordx4 v[2:5], v[130:131], off offset:192
	global_load_dwordx4 v[6:9], v[130:131], off offset:512
	global_load_dwordx4 v[10:13], v[130:131], off offset:832
	global_load_dwordx4 v[14:17], v[130:131], off offset:1152
	global_load_dwordx4 v[22:25], v[130:131], off offset:1472
	global_load_dwordx4 v[26:29], v[130:131], off offset:1792
	v_mov_b32_e32 v54, 0xfffffa80
	ds_read_b128 v[30:33], v133 offset:192
	ds_read_b128 v[34:37], v133 offset:512
	v_mad_u64_u32 v[18:19], s[6:7], s4, v134, 0
	v_or_b32_e32 v61, 0x48, v128
	ds_read_b128 v[38:41], v133 offset:832
	ds_read_b128 v[42:45], v133 offset:1152
	;; [unrolled: 1-line block ×4, first 2 shown]
	v_or_b32_e32 v63, 0x70, v128
	v_mad_u64_u32 v[54:55], s[6:7], s4, v54, v[0:1]
	v_mov_b32_e32 v0, v19
	v_mad_u64_u32 v[56:57], s[6:7], s4, v61, 0
	v_mad_u64_u32 v[58:59], s[6:7], s4, v63, 0
	;; [unrolled: 1-line block ×3, first 2 shown]
	v_mov_b32_e32 v60, v57
	s_mul_i32 s8, s5, 0xfffffa80
	v_mov_b32_e32 v62, v59
	v_mov_b32_e32 v19, v0
	v_mad_u64_u32 v[0:1], s[6:7], s5, v61, v[60:61]
	s_sub_i32 s8, s8, s4
	v_mad_u64_u32 v[60:61], s[4:5], s5, v63, v[62:63]
	v_mov_b32_e32 v57, v0
	s_lshl_b64 s[2:3], s[2:3], 4
	v_add_u32_e32 v55, s8, v55
	v_lshl_add_u64 v[62:63], v[18:19], 4, v[20:21]
	v_mov_b32_e32 v59, v60
	v_lshl_add_u64 v[64:65], v[54:55], 0, s[2:3]
	v_lshl_add_u64 v[66:67], v[64:65], 0, s[2:3]
	;; [unrolled: 1-line block ×3, first 2 shown]
	s_waitcnt vmcnt(5) lgkmcnt(5)
	v_mul_f64 v[0:1], v[32:33], v[4:5]
	v_mul_f64 v[4:5], v[30:31], v[4:5]
	s_waitcnt vmcnt(4) lgkmcnt(4)
	v_mul_f64 v[18:19], v[36:37], v[8:9]
	v_mul_f64 v[8:9], v[34:35], v[8:9]
	s_waitcnt vmcnt(3) lgkmcnt(3)
	v_mul_f64 v[60:61], v[40:41], v[12:13]
	v_mul_f64 v[12:13], v[38:39], v[12:13]
	s_waitcnt vmcnt(2) lgkmcnt(2)
	v_mul_f64 v[68:69], v[44:45], v[16:17]
	v_mul_f64 v[16:17], v[42:43], v[16:17]
	s_waitcnt vmcnt(1) lgkmcnt(1)
	v_mul_f64 v[70:71], v[48:49], v[24:25]
	v_mul_f64 v[24:25], v[46:47], v[24:25]
	s_waitcnt vmcnt(0) lgkmcnt(0)
	v_mul_f64 v[72:73], v[52:53], v[28:29]
	v_mul_f64 v[28:29], v[50:51], v[28:29]
	v_fmac_f64_e32 v[0:1], v[30:31], v[2:3]
	v_fma_f64 v[2:3], v[2:3], v[32:33], -v[4:5]
	v_fmac_f64_e32 v[18:19], v[34:35], v[6:7]
	v_fma_f64 v[6:7], v[6:7], v[36:37], -v[8:9]
	;; [unrolled: 2-line block ×6, first 2 shown]
	v_mul_f64 v[0:1], v[0:1], s[0:1]
	v_mul_f64 v[2:3], v[2:3], s[0:1]
	;; [unrolled: 1-line block ×12, first 2 shown]
	global_store_dwordx4 v[54:55], v[0:3], off
	global_store_dwordx4 v[62:63], v[4:7], off
	;; [unrolled: 1-line block ×5, first 2 shown]
	v_lshl_add_u64 v[0:1], v[58:59], 4, v[20:21]
	global_store_dwordx4 v[0:1], v[22:25], off
.LBB0_15:
	s_endpgm
	.section	.rodata,"a",@progbits
	.p2align	6, 0x0
	.amdhsa_kernel bluestein_single_fwd_len120_dim1_dp_op_CI_CI
		.amdhsa_group_segment_fixed_size 9600
		.amdhsa_private_segment_fixed_size 0
		.amdhsa_kernarg_size 104
		.amdhsa_user_sgpr_count 2
		.amdhsa_user_sgpr_dispatch_ptr 0
		.amdhsa_user_sgpr_queue_ptr 0
		.amdhsa_user_sgpr_kernarg_segment_ptr 1
		.amdhsa_user_sgpr_dispatch_id 0
		.amdhsa_user_sgpr_kernarg_preload_length 0
		.amdhsa_user_sgpr_kernarg_preload_offset 0
		.amdhsa_user_sgpr_private_segment_size 0
		.amdhsa_uses_dynamic_stack 0
		.amdhsa_enable_private_segment 0
		.amdhsa_system_sgpr_workgroup_id_x 1
		.amdhsa_system_sgpr_workgroup_id_y 0
		.amdhsa_system_sgpr_workgroup_id_z 0
		.amdhsa_system_sgpr_workgroup_info 0
		.amdhsa_system_vgpr_workitem_id 0
		.amdhsa_next_free_vgpr 160
		.amdhsa_next_free_sgpr 22
		.amdhsa_accum_offset 160
		.amdhsa_reserve_vcc 1
		.amdhsa_float_round_mode_32 0
		.amdhsa_float_round_mode_16_64 0
		.amdhsa_float_denorm_mode_32 3
		.amdhsa_float_denorm_mode_16_64 3
		.amdhsa_dx10_clamp 1
		.amdhsa_ieee_mode 1
		.amdhsa_fp16_overflow 0
		.amdhsa_tg_split 0
		.amdhsa_exception_fp_ieee_invalid_op 0
		.amdhsa_exception_fp_denorm_src 0
		.amdhsa_exception_fp_ieee_div_zero 0
		.amdhsa_exception_fp_ieee_overflow 0
		.amdhsa_exception_fp_ieee_underflow 0
		.amdhsa_exception_fp_ieee_inexact 0
		.amdhsa_exception_int_div_zero 0
	.end_amdhsa_kernel
	.text
.Lfunc_end0:
	.size	bluestein_single_fwd_len120_dim1_dp_op_CI_CI, .Lfunc_end0-bluestein_single_fwd_len120_dim1_dp_op_CI_CI
                                        ; -- End function
	.section	.AMDGPU.csdata,"",@progbits
; Kernel info:
; codeLenInByte = 9400
; NumSgprs: 28
; NumVgprs: 160
; NumAgprs: 0
; TotalNumVgprs: 160
; ScratchSize: 0
; MemoryBound: 0
; FloatMode: 240
; IeeeMode: 1
; LDSByteSize: 9600 bytes/workgroup (compile time only)
; SGPRBlocks: 3
; VGPRBlocks: 19
; NumSGPRsForWavesPerEU: 28
; NumVGPRsForWavesPerEU: 160
; AccumOffset: 160
; Occupancy: 3
; WaveLimiterHint : 1
; COMPUTE_PGM_RSRC2:SCRATCH_EN: 0
; COMPUTE_PGM_RSRC2:USER_SGPR: 2
; COMPUTE_PGM_RSRC2:TRAP_HANDLER: 0
; COMPUTE_PGM_RSRC2:TGID_X_EN: 1
; COMPUTE_PGM_RSRC2:TGID_Y_EN: 0
; COMPUTE_PGM_RSRC2:TGID_Z_EN: 0
; COMPUTE_PGM_RSRC2:TIDIG_COMP_CNT: 0
; COMPUTE_PGM_RSRC3_GFX90A:ACCUM_OFFSET: 39
; COMPUTE_PGM_RSRC3_GFX90A:TG_SPLIT: 0
	.text
	.p2alignl 6, 3212836864
	.fill 256, 4, 3212836864
	.type	__hip_cuid_79aa5030cb2ec6e7,@object ; @__hip_cuid_79aa5030cb2ec6e7
	.section	.bss,"aw",@nobits
	.globl	__hip_cuid_79aa5030cb2ec6e7
__hip_cuid_79aa5030cb2ec6e7:
	.byte	0                               ; 0x0
	.size	__hip_cuid_79aa5030cb2ec6e7, 1

	.ident	"AMD clang version 19.0.0git (https://github.com/RadeonOpenCompute/llvm-project roc-6.4.0 25133 c7fe45cf4b819c5991fe208aaa96edf142730f1d)"
	.section	".note.GNU-stack","",@progbits
	.addrsig
	.addrsig_sym __hip_cuid_79aa5030cb2ec6e7
	.amdgpu_metadata
---
amdhsa.kernels:
  - .agpr_count:     0
    .args:
      - .actual_access:  read_only
        .address_space:  global
        .offset:         0
        .size:           8
        .value_kind:     global_buffer
      - .actual_access:  read_only
        .address_space:  global
        .offset:         8
        .size:           8
        .value_kind:     global_buffer
      - .actual_access:  read_only
        .address_space:  global
        .offset:         16
        .size:           8
        .value_kind:     global_buffer
      - .actual_access:  read_only
        .address_space:  global
        .offset:         24
        .size:           8
        .value_kind:     global_buffer
      - .actual_access:  read_only
        .address_space:  global
        .offset:         32
        .size:           8
        .value_kind:     global_buffer
      - .offset:         40
        .size:           8
        .value_kind:     by_value
      - .address_space:  global
        .offset:         48
        .size:           8
        .value_kind:     global_buffer
      - .address_space:  global
        .offset:         56
        .size:           8
        .value_kind:     global_buffer
      - .address_space:  global
        .offset:         64
        .size:           8
        .value_kind:     global_buffer
      - .address_space:  global
        .offset:         72
        .size:           8
        .value_kind:     global_buffer
      - .offset:         80
        .size:           4
        .value_kind:     by_value
      - .address_space:  global
        .offset:         88
        .size:           8
        .value_kind:     global_buffer
      - .address_space:  global
        .offset:         96
        .size:           8
        .value_kind:     global_buffer
    .group_segment_fixed_size: 9600
    .kernarg_segment_align: 8
    .kernarg_segment_size: 104
    .language:       OpenCL C
    .language_version:
      - 2
      - 0
    .max_flat_workgroup_size: 60
    .name:           bluestein_single_fwd_len120_dim1_dp_op_CI_CI
    .private_segment_fixed_size: 0
    .sgpr_count:     28
    .sgpr_spill_count: 0
    .symbol:         bluestein_single_fwd_len120_dim1_dp_op_CI_CI.kd
    .uniform_work_group_size: 1
    .uses_dynamic_stack: false
    .vgpr_count:     160
    .vgpr_spill_count: 0
    .wavefront_size: 64
amdhsa.target:   amdgcn-amd-amdhsa--gfx950
amdhsa.version:
  - 1
  - 2
...

	.end_amdgpu_metadata
